;; amdgpu-corpus repo=ROCm/rocFFT kind=compiled arch=gfx1030 opt=O3
	.text
	.amdgcn_target "amdgcn-amd-amdhsa--gfx1030"
	.amdhsa_code_object_version 6
	.protected	bluestein_single_fwd_len896_dim1_dp_op_CI_CI ; -- Begin function bluestein_single_fwd_len896_dim1_dp_op_CI_CI
	.globl	bluestein_single_fwd_len896_dim1_dp_op_CI_CI
	.p2align	8
	.type	bluestein_single_fwd_len896_dim1_dp_op_CI_CI,@function
bluestein_single_fwd_len896_dim1_dp_op_CI_CI: ; @bluestein_single_fwd_len896_dim1_dp_op_CI_CI
; %bb.0:
	s_load_dwordx4 s[8:11], s[4:5], 0x28
	v_mul_u32_u24_e32 v1, 0x24a, v0
	v_mov_b32_e32 v177, 0
	s_mov_b32 s0, exec_lo
	v_lshrrev_b32_e32 v1, 16, v1
	v_add_nc_u32_e32 v176, s6, v1
	s_waitcnt lgkmcnt(0)
	v_cmpx_gt_u64_e64 s[8:9], v[176:177]
	s_cbranch_execz .LBB0_10
; %bb.1:
	s_clause 0x1
	s_load_dwordx4 s[0:3], s[4:5], 0x18
	s_load_dwordx4 s[12:15], s[4:5], 0x0
	v_mul_lo_u16 v1, 0x70, v1
                                        ; implicit-def: $vgpr136_vgpr137
                                        ; implicit-def: $vgpr140_vgpr141
                                        ; implicit-def: $vgpr128_vgpr129
                                        ; implicit-def: $vgpr132_vgpr133
	v_sub_nc_u16 v88, v0, v1
	v_and_b32_e32 v187, 0xffff, v88
	v_lshlrev_b32_e32 v188, 4, v187
	v_add_co_u32 v144, null, 0x70, v187
	s_waitcnt lgkmcnt(0)
	s_load_dwordx4 s[16:19], s[0:1], 0x0
	s_clause 0x1
	global_load_dwordx4 v[0:3], v188, s[12:13]
	global_load_dwordx4 v[4:7], v188, s[12:13] offset:1792
	v_add_co_u32 v25, s0, s12, v188
	v_add_co_ci_u32_e64 v26, null, s13, 0, s0
	v_lshlrev_b32_e32 v206, 5, v187
	v_add_co_u32 v8, vcc_lo, 0x1800, v25
	v_add_co_ci_u32_e32 v9, vcc_lo, 0, v26, vcc_lo
	v_add_co_u32 v10, vcc_lo, 0x2000, v25
	v_add_co_ci_u32_e32 v11, vcc_lo, 0, v26, vcc_lo
	;; [unrolled: 2-line block ×3, first 2 shown]
	s_waitcnt lgkmcnt(0)
	v_mad_u64_u32 v[12:13], null, s18, v176, 0
	v_mad_u64_u32 v[14:15], null, s16, v187, 0
	v_add_co_u32 v18, vcc_lo, 0x2800, v25
	v_add_co_ci_u32_e32 v19, vcc_lo, 0, v26, vcc_lo
	v_add_co_u32 v20, vcc_lo, 0x1000, v25
	v_mad_u64_u32 v[22:23], null, s19, v176, v[13:14]
	v_mad_u64_u32 v[23:24], null, s17, v187, v[15:16]
	v_add_co_ci_u32_e32 v21, vcc_lo, 0, v26, vcc_lo
	v_add_co_u32 v28, vcc_lo, 0x3000, v25
	v_mov_b32_e32 v13, v22
	v_add_co_ci_u32_e32 v29, vcc_lo, 0, v26, vcc_lo
	v_mov_b32_e32 v15, v23
	s_mul_i32 s0, s17, 0x1c00
	v_lshlrev_b64 v[12:13], 4, v[12:13]
	s_mul_hi_u32 s1, s16, 0x1c00
	s_mul_i32 s6, s16, 0x1c00
	v_lshlrev_b64 v[14:15], 4, v[14:15]
	s_add_i32 s1, s1, s0
	s_mul_hi_u32 s8, s16, 0xffffeb00
	v_add_co_u32 v12, vcc_lo, s10, v12
	v_add_co_ci_u32_e32 v13, vcc_lo, s11, v13, vcc_lo
	s_mul_i32 s7, s17, 0xffffeb00
	v_add_co_u32 v22, vcc_lo, v12, v14
	v_add_co_ci_u32_e32 v23, vcc_lo, v13, v15, vcc_lo
	s_mul_i32 s9, s16, 0xffffeb00
	v_add_co_u32 v30, vcc_lo, v22, s6
	v_add_co_ci_u32_e32 v31, vcc_lo, s1, v23, vcc_lo
	s_sub_i32 s0, s8, s16
	v_add_co_u32 v40, vcc_lo, v30, s9
	s_add_i32 s0, s0, s7
	s_clause 0x1
	global_load_dwordx4 v[24:27], v[8:9], off offset:1024
	global_load_dwordx4 v[8:11], v[10:11], off offset:768
	v_add_co_ci_u32_e32 v41, vcc_lo, s0, v31, vcc_lo
	v_add_co_u32 v44, vcc_lo, v40, s6
	global_load_dwordx4 v[12:15], v[16:17], off offset:1536
	v_add_co_ci_u32_e32 v45, vcc_lo, s1, v41, vcc_lo
	v_add_co_u32 v48, vcc_lo, v44, s9
	global_load_dwordx4 v[16:19], v[18:19], off offset:512
	v_add_co_ci_u32_e32 v49, vcc_lo, s0, v45, vcc_lo
	s_clause 0x1
	global_load_dwordx4 v[32:35], v[22:23], off
	global_load_dwordx4 v[36:39], v[30:31], off
	v_add_co_u32 v22, vcc_lo, v48, s6
	v_add_co_ci_u32_e32 v23, vcc_lo, s1, v49, vcc_lo
	s_clause 0x1
	global_load_dwordx4 v[40:43], v[40:41], off
	global_load_dwordx4 v[44:47], v[44:45], off
	v_add_co_u32 v30, vcc_lo, v22, s9
	v_add_co_ci_u32_e32 v31, vcc_lo, s0, v23, vcc_lo
	global_load_dwordx4 v[48:51], v[48:49], off
	v_add_co_u32 v60, vcc_lo, v30, s6
	v_add_co_ci_u32_e32 v61, vcc_lo, s1, v31, vcc_lo
	global_load_dwordx4 v[52:55], v[22:23], off
	global_load_dwordx4 v[20:23], v[20:21], off offset:1280
	global_load_dwordx4 v[56:59], v[30:31], off
	global_load_dwordx4 v[28:31], v[28:29], off offset:256
	global_load_dwordx4 v[60:63], v[60:61], off
	s_load_dwordx4 s[8:11], s[2:3], 0x0
	v_lshlrev_b32_e32 v200, 5, v144
	v_and_b32_e32 v103, 31, v187
	v_and_b32_e32 v105, 31, v144
	;; [unrolled: 1-line block ×4, first 2 shown]
	s_load_dwordx2 s[2:3], s[4:5], 0x38
	v_cmp_gt_u16_e32 vcc_lo, 16, v88
	s_waitcnt vmcnt(9)
	v_mul_f64 v[64:65], v[34:35], v[2:3]
	v_mul_f64 v[66:67], v[32:33], v[2:3]
	s_waitcnt vmcnt(8)
	v_mul_f64 v[68:69], v[38:39], v[26:27]
	v_mul_f64 v[70:71], v[36:37], v[26:27]
	;; [unrolled: 3-line block ×8, first 2 shown]
	v_fma_f64 v[32:33], v[32:33], v[0:1], v[64:65]
	v_fma_f64 v[34:35], v[34:35], v[0:1], -v[66:67]
	v_fma_f64 v[36:37], v[36:37], v[24:25], v[68:69]
	v_fma_f64 v[38:39], v[38:39], v[24:25], -v[70:71]
	;; [unrolled: 2-line block ×4, first 2 shown]
	v_and_b32_e32 v78, 1, v187
	v_fma_f64 v[48:49], v[48:49], v[12:13], v[80:81]
	v_fma_f64 v[50:51], v[50:51], v[12:13], -v[82:83]
	v_fma_f64 v[52:53], v[52:53], v[16:17], v[84:85]
	v_fma_f64 v[54:55], v[54:55], v[16:17], -v[86:87]
	;; [unrolled: 2-line block ×4, first 2 shown]
	v_and_b32_e32 v86, 3, v187
	v_and_b32_e32 v91, 7, v187
	;; [unrolled: 1-line block ×3, first 2 shown]
	ds_write_b128 v188, v[32:35]
	ds_write_b128 v188, v[36:39] offset:7168
	ds_write_b128 v188, v[40:43] offset:1792
	;; [unrolled: 1-line block ×7, first 2 shown]
	s_waitcnt lgkmcnt(0)
	s_barrier
	buffer_gl0_inv
	ds_read_b128 v[32:35], v188 offset:7168
	ds_read_b128 v[36:39], v188
	ds_read_b128 v[40:43], v188 offset:1792
	ds_read_b128 v[44:47], v188 offset:8960
	ds_read_b128 v[48:51], v188 offset:10752
	ds_read_b128 v[52:55], v188 offset:3584
	ds_read_b128 v[56:59], v188 offset:5376
	ds_read_b128 v[60:63], v188 offset:12544
	s_waitcnt lgkmcnt(0)
	s_barrier
	buffer_gl0_inv
	v_add_f64 v[32:33], v[36:37], -v[32:33]
	v_add_f64 v[34:35], v[38:39], -v[34:35]
	v_add_f64 v[44:45], v[40:41], -v[44:45]
	v_add_f64 v[46:47], v[42:43], -v[46:47]
	v_add_f64 v[64:65], v[52:53], -v[48:49]
	v_add_f64 v[66:67], v[54:55], -v[50:51]
	v_add_f64 v[60:61], v[56:57], -v[60:61]
	v_add_f64 v[62:63], v[58:59], -v[62:63]
	v_add_nc_u32_e32 v49, 0xe0, v187
	v_add_nc_u32_e32 v48, 0x150, v187
	v_lshlrev_b32_e32 v196, 5, v49
	v_lshlrev_b32_e32 v193, 5, v48
	v_and_b32_e32 v104, 31, v48
	v_and_b32_e32 v124, 63, v48
	;; [unrolled: 1-line block ×3, first 2 shown]
	v_fma_f64 v[36:37], v[36:37], 2.0, -v[32:33]
	v_fma_f64 v[38:39], v[38:39], 2.0, -v[34:35]
	;; [unrolled: 1-line block ×8, first 2 shown]
	v_lshlrev_b32_e32 v58, 4, v78
	ds_write_b128 v206, v[32:35] offset:16
	ds_write_b128 v206, v[36:39]
	ds_write_b128 v200, v[40:43]
	ds_write_b128 v200, v[44:47] offset:16
	ds_write_b128 v206, v[50:53] offset:7168
	ds_write_b128 v196, v[64:67] offset:16
	ds_write_b128 v206, v[54:57] offset:10752
	ds_write_b128 v193, v[60:63] offset:16
	s_waitcnt lgkmcnt(0)
	s_barrier
	buffer_gl0_inv
	global_load_dwordx4 v[52:55], v58, s[14:15]
	ds_read_b128 v[32:35], v188 offset:7168
	ds_read_b128 v[36:39], v188 offset:8960
	;; [unrolled: 1-line block ×4, first 2 shown]
	ds_read_b128 v[58:61], v188
	ds_read_b128 v[62:65], v188 offset:1792
	s_waitcnt vmcnt(0) lgkmcnt(5)
	v_mul_f64 v[50:51], v[34:35], v[54:55]
	v_mul_f64 v[56:57], v[32:33], v[54:55]
	s_waitcnt lgkmcnt(4)
	v_mul_f64 v[66:67], v[38:39], v[54:55]
	v_mul_f64 v[68:69], v[36:37], v[54:55]
	s_waitcnt lgkmcnt(3)
	;; [unrolled: 3-line block ×3, first 2 shown]
	v_mul_f64 v[74:75], v[46:47], v[54:55]
	v_mul_f64 v[76:77], v[44:45], v[54:55]
	v_fma_f64 v[50:51], v[32:33], v[52:53], -v[50:51]
	v_fma_f64 v[56:57], v[34:35], v[52:53], v[56:57]
	v_fma_f64 v[66:67], v[36:37], v[52:53], -v[66:67]
	v_fma_f64 v[68:69], v[38:39], v[52:53], v[68:69]
	v_fma_f64 v[70:71], v[40:41], v[52:53], -v[70:71]
	v_fma_f64 v[72:73], v[42:43], v[52:53], v[72:73]
	v_fma_f64 v[74:75], v[44:45], v[52:53], -v[74:75]
	ds_read_b128 v[32:35], v188 offset:3584
	ds_read_b128 v[36:39], v188 offset:5376
	v_fma_f64 v[76:77], v[46:47], v[52:53], v[76:77]
	s_waitcnt lgkmcnt(0)
	s_barrier
	buffer_gl0_inv
	v_add_f64 v[40:41], v[58:59], -v[50:51]
	v_add_f64 v[42:43], v[60:61], -v[56:57]
	;; [unrolled: 1-line block ×4, first 2 shown]
	v_lshlrev_b32_e32 v57, 1, v187
	v_add_f64 v[66:67], v[32:33], -v[70:71]
	v_add_f64 v[68:69], v[34:35], -v[72:73]
	;; [unrolled: 1-line block ×3, first 2 shown]
	v_lshlrev_b32_e32 v51, 1, v144
	v_add_f64 v[72:73], v[38:39], -v[76:77]
	v_lshlrev_b32_e32 v56, 1, v49
	v_lshlrev_b32_e32 v50, 1, v48
	v_and_or_b32 v74, 0xfc, v57, v78
	v_and_or_b32 v75, 0x1fc, v51, v78
	;; [unrolled: 1-line block ×5, first 2 shown]
	v_lshlrev_b32_e32 v78, 4, v86
	v_lshlrev_b32_e32 v205, 4, v74
	;; [unrolled: 1-line block ×5, first 2 shown]
	v_fma_f64 v[58:59], v[58:59], 2.0, -v[40:41]
	v_fma_f64 v[60:61], v[60:61], 2.0, -v[42:43]
	;; [unrolled: 1-line block ×4, first 2 shown]
	v_and_or_b32 v49, 0x3c0, v56, v103
	v_fma_f64 v[32:33], v[32:33], 2.0, -v[66:67]
	v_fma_f64 v[34:35], v[34:35], 2.0, -v[68:69]
	;; [unrolled: 1-line block ×3, first 2 shown]
	v_lshlrev_b32_e32 v215, 4, v48
	v_fma_f64 v[38:39], v[38:39], 2.0, -v[72:73]
	ds_write_b128 v205, v[40:43] offset:32
	ds_write_b128 v205, v[58:61]
	ds_write_b128 v199, v[62:65]
	ds_write_b128 v199, v[44:47] offset:32
	ds_write_b128 v195, v[32:35]
	ds_write_b128 v195, v[66:69] offset:32
	;; [unrolled: 2-line block ×3, first 2 shown]
	s_waitcnt lgkmcnt(0)
	s_barrier
	buffer_gl0_inv
	global_load_dwordx4 v[44:47], v78, s[14:15] offset:32
	ds_read_b128 v[32:35], v188 offset:7168
	ds_read_b128 v[36:39], v188 offset:8960
	;; [unrolled: 1-line block ×4, first 2 shown]
	ds_read_b128 v[62:65], v188
	ds_read_b128 v[66:69], v188 offset:1792
	v_lshlrev_b32_e32 v214, 4, v49
	v_lshlrev_b32_e32 v48, 4, v124
	s_waitcnt vmcnt(0) lgkmcnt(5)
	v_mul_f64 v[70:71], v[34:35], v[46:47]
	v_mul_f64 v[72:73], v[32:33], v[46:47]
	s_waitcnt lgkmcnt(4)
	v_mul_f64 v[74:75], v[38:39], v[46:47]
	v_mul_f64 v[76:77], v[36:37], v[46:47]
	s_waitcnt lgkmcnt(3)
	;; [unrolled: 3-line block ×3, first 2 shown]
	v_mul_f64 v[82:83], v[60:61], v[46:47]
	v_mul_f64 v[84:85], v[58:59], v[46:47]
	v_fma_f64 v[70:71], v[32:33], v[44:45], -v[70:71]
	v_fma_f64 v[72:73], v[34:35], v[44:45], v[72:73]
	v_fma_f64 v[74:75], v[36:37], v[44:45], -v[74:75]
	v_fma_f64 v[76:77], v[38:39], v[44:45], v[76:77]
	;; [unrolled: 2-line block ×3, first 2 shown]
	v_fma_f64 v[82:83], v[58:59], v[44:45], -v[82:83]
	ds_read_b128 v[32:35], v188 offset:3584
	ds_read_b128 v[36:39], v188 offset:5376
	v_fma_f64 v[84:85], v[60:61], v[44:45], v[84:85]
	s_waitcnt lgkmcnt(0)
	s_barrier
	buffer_gl0_inv
	v_add_f64 v[40:41], v[62:63], -v[70:71]
	v_add_f64 v[42:43], v[64:65], -v[72:73]
	;; [unrolled: 1-line block ×7, first 2 shown]
	v_and_or_b32 v78, 0xf8, v57, v86
	v_add_f64 v[76:77], v[38:39], -v[84:85]
	v_and_or_b32 v79, 0x1f8, v51, v86
	v_and_or_b32 v80, 0x3f8, v56, v86
	v_and_or_b32 v81, 0x3f8, v50, v86
	v_lshlrev_b32_e32 v82, 4, v91
	v_lshlrev_b32_e32 v202, 4, v78
	;; [unrolled: 1-line block ×5, first 2 shown]
	v_fma_f64 v[62:63], v[62:63], 2.0, -v[40:41]
	v_fma_f64 v[64:65], v[64:65], 2.0, -v[42:43]
	;; [unrolled: 1-line block ×8, first 2 shown]
	ds_write_b128 v202, v[40:43] offset:64
	ds_write_b128 v202, v[62:65]
	ds_write_b128 v198, v[66:69]
	ds_write_b128 v198, v[58:61] offset:64
	ds_write_b128 v194, v[32:35]
	ds_write_b128 v194, v[70:73] offset:64
	;; [unrolled: 2-line block ×3, first 2 shown]
	s_waitcnt lgkmcnt(0)
	s_barrier
	buffer_gl0_inv
	global_load_dwordx4 v[40:43], v82, s[14:15] offset:96
	ds_read_b128 v[32:35], v188 offset:7168
	ds_read_b128 v[36:39], v188 offset:8960
	;; [unrolled: 1-line block ×4, first 2 shown]
	ds_read_b128 v[66:69], v188
	ds_read_b128 v[70:73], v188 offset:1792
	s_waitcnt vmcnt(0) lgkmcnt(5)
	v_mul_f64 v[74:75], v[34:35], v[42:43]
	v_mul_f64 v[76:77], v[32:33], v[42:43]
	s_waitcnt lgkmcnt(4)
	v_mul_f64 v[78:79], v[38:39], v[42:43]
	v_mul_f64 v[80:81], v[36:37], v[42:43]
	s_waitcnt lgkmcnt(3)
	;; [unrolled: 3-line block ×3, first 2 shown]
	v_mul_f64 v[86:87], v[64:65], v[42:43]
	v_mul_f64 v[89:90], v[62:63], v[42:43]
	v_fma_f64 v[74:75], v[32:33], v[40:41], -v[74:75]
	v_fma_f64 v[76:77], v[34:35], v[40:41], v[76:77]
	v_fma_f64 v[78:79], v[36:37], v[40:41], -v[78:79]
	v_fma_f64 v[80:81], v[38:39], v[40:41], v[80:81]
	;; [unrolled: 2-line block ×3, first 2 shown]
	v_fma_f64 v[86:87], v[62:63], v[40:41], -v[86:87]
	ds_read_b128 v[32:35], v188 offset:3584
	ds_read_b128 v[36:39], v188 offset:5376
	v_fma_f64 v[89:90], v[64:65], v[40:41], v[89:90]
	s_waitcnt lgkmcnt(0)
	s_barrier
	buffer_gl0_inv
	v_add_f64 v[58:59], v[66:67], -v[74:75]
	v_add_f64 v[60:61], v[68:69], -v[76:77]
	;; [unrolled: 1-line block ×7, first 2 shown]
	v_and_or_b32 v82, 0xf0, v57, v91
	v_add_f64 v[80:81], v[38:39], -v[89:90]
	v_and_or_b32 v83, 0x1f0, v51, v91
	v_and_or_b32 v84, 0x3f0, v56, v91
	;; [unrolled: 1-line block ×3, first 2 shown]
	v_lshlrev_b32_e32 v86, 4, v95
	v_lshlrev_b32_e32 v201, 4, v82
	;; [unrolled: 1-line block ×5, first 2 shown]
	v_fma_f64 v[66:67], v[66:67], 2.0, -v[58:59]
	v_fma_f64 v[68:69], v[68:69], 2.0, -v[60:61]
	;; [unrolled: 1-line block ×8, first 2 shown]
	ds_write_b128 v201, v[58:61] offset:128
	ds_write_b128 v201, v[66:69]
	ds_write_b128 v197, v[70:73]
	ds_write_b128 v197, v[62:65] offset:128
	ds_write_b128 v191, v[32:35]
	ds_write_b128 v191, v[74:77] offset:128
	ds_write_b128 v189, v[36:39]
	ds_write_b128 v189, v[78:81] offset:128
	s_waitcnt lgkmcnt(0)
	s_barrier
	buffer_gl0_inv
	global_load_dwordx4 v[36:39], v86, s[14:15] offset:224
	ds_read_b128 v[32:35], v188 offset:7168
	ds_read_b128 v[58:61], v188 offset:8960
	;; [unrolled: 1-line block ×4, first 2 shown]
	ds_read_b128 v[70:73], v188
	ds_read_b128 v[74:77], v188 offset:1792
	s_waitcnt vmcnt(0) lgkmcnt(5)
	v_mul_f64 v[78:79], v[34:35], v[38:39]
	v_mul_f64 v[80:81], v[32:33], v[38:39]
	s_waitcnt lgkmcnt(4)
	v_mul_f64 v[82:83], v[60:61], v[38:39]
	v_mul_f64 v[84:85], v[58:59], v[38:39]
	s_waitcnt lgkmcnt(3)
	;; [unrolled: 3-line block ×3, first 2 shown]
	v_mul_f64 v[91:92], v[68:69], v[38:39]
	v_mul_f64 v[93:94], v[66:67], v[38:39]
	v_fma_f64 v[78:79], v[32:33], v[36:37], -v[78:79]
	v_fma_f64 v[80:81], v[34:35], v[36:37], v[80:81]
	v_fma_f64 v[82:83], v[58:59], v[36:37], -v[82:83]
	v_fma_f64 v[84:85], v[60:61], v[36:37], v[84:85]
	;; [unrolled: 2-line block ×3, first 2 shown]
	v_fma_f64 v[91:92], v[66:67], v[36:37], -v[91:92]
	ds_read_b128 v[32:35], v188 offset:3584
	ds_read_b128 v[58:61], v188 offset:5376
	v_fma_f64 v[93:94], v[68:69], v[36:37], v[93:94]
	s_waitcnt lgkmcnt(0)
	s_barrier
	buffer_gl0_inv
	v_add_f64 v[62:63], v[70:71], -v[78:79]
	v_add_f64 v[64:65], v[72:73], -v[80:81]
	;; [unrolled: 1-line block ×7, first 2 shown]
	v_and_or_b32 v86, 0xe0, v57, v95
	v_add_f64 v[84:85], v[60:61], -v[93:94]
	v_and_or_b32 v89, 0x1e0, v51, v95
	v_and_or_b32 v90, 0x3e0, v56, v95
	v_lshlrev_b32_e32 v87, 4, v103
	v_and_or_b32 v91, 0x3e0, v50, v95
	v_lshlrev_b32_e32 v212, 4, v86
	v_lshlrev_b32_e32 v86, 4, v104
	;; [unrolled: 1-line block ×5, first 2 shown]
	v_fma_f64 v[70:71], v[70:71], 2.0, -v[62:63]
	v_fma_f64 v[72:73], v[72:73], 2.0, -v[64:65]
	;; [unrolled: 1-line block ×8, first 2 shown]
	ds_write_b128 v212, v[62:65] offset:256
	ds_write_b128 v212, v[70:73]
	ds_write_b128 v211, v[74:77]
	ds_write_b128 v211, v[66:69] offset:256
	ds_write_b128 v208, v[32:35]
	ds_write_b128 v208, v[78:81] offset:256
	;; [unrolled: 2-line block ×3, first 2 shown]
	s_waitcnt lgkmcnt(0)
	s_barrier
	buffer_gl0_inv
	s_clause 0x2
	global_load_dwordx4 v[64:67], v87, s[14:15] offset:480
	global_load_dwordx4 v[32:35], v86, s[14:15] offset:480
	global_load_dwordx2 v[177:178], v86, s[14:15] offset:488
	v_lshlrev_b32_e32 v58, 4, v105
	global_load_dwordx2 v[179:180], v58, s[14:15] offset:480
	ds_read_b128 v[58:61], v188 offset:7168
	ds_read_b128 v[68:71], v188 offset:8960
	;; [unrolled: 1-line block ×4, first 2 shown]
	ds_read_b128 v[80:83], v188
	ds_read_b128 v[84:87], v188 offset:1792
	s_waitcnt vmcnt(3) lgkmcnt(5)
	v_mul_f64 v[62:63], v[60:61], v[66:67]
	v_mul_f64 v[89:90], v[58:59], v[66:67]
	s_waitcnt vmcnt(2) lgkmcnt(4)
	v_mul_f64 v[91:92], v[70:71], v[34:35]
	v_mul_f64 v[93:94], v[68:69], v[34:35]
	s_waitcnt lgkmcnt(3)
	v_mul_f64 v[95:96], v[74:75], v[66:67]
	v_mul_f64 v[97:98], v[72:73], v[66:67]
	s_waitcnt vmcnt(1) lgkmcnt(2)
	v_mul_f64 v[99:100], v[78:79], v[177:178]
	v_mul_f64 v[101:102], v[76:77], v[177:178]
	v_fma_f64 v[62:63], v[58:59], v[64:65], -v[62:63]
	v_fma_f64 v[89:90], v[60:61], v[64:65], v[89:90]
	s_waitcnt vmcnt(0)
	v_fma_f64 v[91:92], v[68:69], v[179:180], -v[91:92]
	v_fma_f64 v[93:94], v[70:71], v[179:180], v[93:94]
	v_fma_f64 v[95:96], v[72:73], v[64:65], -v[95:96]
	v_fma_f64 v[97:98], v[74:75], v[64:65], v[97:98]
	v_fma_f64 v[99:100], v[76:77], v[32:33], -v[99:100]
	ds_read_b128 v[58:61], v188 offset:3584
	ds_read_b128 v[68:71], v188 offset:5376
	v_fma_f64 v[101:102], v[78:79], v[32:33], v[101:102]
	s_waitcnt lgkmcnt(0)
	s_barrier
	buffer_gl0_inv
	v_add_f64 v[72:73], v[80:81], -v[62:63]
	v_add_f64 v[74:75], v[82:83], -v[89:90]
	;; [unrolled: 1-line block ×4, first 2 shown]
	v_and_or_b32 v62, 0xc0, v57, v103
	v_add_f64 v[89:90], v[58:59], -v[95:96]
	v_add_f64 v[91:92], v[60:61], -v[97:98]
	;; [unrolled: 1-line block ×3, first 2 shown]
	v_lshlrev_b32_e32 v63, 4, v117
	v_add_f64 v[95:96], v[70:71], -v[101:102]
	v_lshlrev_b32_e32 v216, 4, v62
	v_and_or_b32 v62, 0x3c0, v50, v104
	v_lshlrev_b32_e32 v97, 4, v118
	v_lshlrev_b32_e32 v98, 4, v119
	v_and_or_b32 v50, 0x380, v50, v124
	v_lshlrev_b32_e32 v213, 4, v62
	v_lshlrev_b32_e32 v203, 4, v50
	v_fma_f64 v[80:81], v[80:81], 2.0, -v[72:73]
	v_fma_f64 v[82:83], v[82:83], 2.0, -v[74:75]
	;; [unrolled: 1-line block ×8, first 2 shown]
	ds_write_b128 v216, v[72:75] offset:512
	ds_write_b128 v216, v[80:83]
	ds_write_b128 v215, v[84:87]
	ds_write_b128 v215, v[76:79] offset:512
	ds_write_b128 v214, v[58:61]
	ds_write_b128 v214, v[89:92] offset:512
	;; [unrolled: 2-line block ×3, first 2 shown]
	s_waitcnt lgkmcnt(0)
	s_barrier
	buffer_gl0_inv
	s_clause 0x3
	global_load_dwordx4 v[84:87], v63, s[14:15] offset:992
	global_load_dwordx4 v[80:83], v97, s[14:15] offset:992
	;; [unrolled: 1-line block ×4, first 2 shown]
	ds_read_b128 v[58:61], v188 offset:7168
	ds_read_b128 v[68:71], v188 offset:8960
	;; [unrolled: 1-line block ×4, first 2 shown]
	ds_read_b128 v[97:100], v188
	ds_read_b128 v[101:104], v188 offset:1792
	s_waitcnt vmcnt(2) lgkmcnt(4)
	v_mul_f64 v[105:106], v[70:71], v[82:83]
	v_mul_f64 v[48:49], v[60:61], v[86:87]
	;; [unrolled: 1-line block ×4, first 2 shown]
	s_waitcnt vmcnt(1) lgkmcnt(3)
	v_mul_f64 v[109:110], v[91:92], v[78:79]
	v_mul_f64 v[111:112], v[89:90], v[78:79]
	s_waitcnt vmcnt(0) lgkmcnt(2)
	v_mul_f64 v[113:114], v[95:96], v[74:75]
	v_mul_f64 v[115:116], v[93:94], v[74:75]
	v_fma_f64 v[105:106], v[68:69], v[80:81], -v[105:106]
	v_fma_f64 v[48:49], v[58:59], v[84:85], -v[48:49]
	v_fma_f64 v[62:63], v[60:61], v[84:85], v[62:63]
	v_fma_f64 v[107:108], v[70:71], v[80:81], v[107:108]
	v_fma_f64 v[109:110], v[89:90], v[76:77], -v[109:110]
	v_fma_f64 v[111:112], v[91:92], v[76:77], v[111:112]
	v_fma_f64 v[113:114], v[93:94], v[72:73], -v[113:114]
	ds_read_b128 v[58:61], v188 offset:3584
	ds_read_b128 v[68:71], v188 offset:5376
	v_fma_f64 v[115:116], v[95:96], v[72:73], v[115:116]
	s_waitcnt lgkmcnt(0)
	s_barrier
	buffer_gl0_inv
	v_add_f64 v[93:94], v[101:102], -v[105:106]
	v_add_f64 v[89:90], v[97:98], -v[48:49]
	v_add_f64 v[91:92], v[99:100], -v[62:63]
	v_add_f64 v[95:96], v[103:104], -v[107:108]
	v_and_or_b32 v48, 0x80, v57, v117
	v_add_f64 v[105:106], v[58:59], -v[109:110]
	v_add_f64 v[107:108], v[60:61], -v[111:112]
	;; [unrolled: 1-line block ×3, first 2 shown]
	v_and_or_b32 v49, 0x180, v51, v118
	v_add_f64 v[122:123], v[70:71], -v[115:116]
	v_and_or_b32 v51, 0x380, v56, v119
	v_lshlrev_b32_e32 v210, 4, v48
	v_lshlrev_b32_e32 v209, 4, v49
	;; [unrolled: 1-line block ×3, first 2 shown]
	v_fma_f64 v[101:102], v[101:102], 2.0, -v[93:94]
	v_fma_f64 v[97:98], v[97:98], 2.0, -v[89:90]
	;; [unrolled: 1-line block ×8, first 2 shown]
	ds_write_b128 v210, v[89:92] offset:1024
	ds_write_b128 v210, v[97:100]
	ds_write_b128 v209, v[101:104]
	ds_write_b128 v209, v[93:96] offset:1024
	ds_write_b128 v207, v[58:61]
	ds_write_b128 v207, v[105:108] offset:1024
	;; [unrolled: 2-line block ×3, first 2 shown]
	s_waitcnt lgkmcnt(0)
	s_barrier
	buffer_gl0_inv
	ds_read_b128 v[124:127], v188
	ds_read_b128 v[116:119], v188 offset:2048
	ds_read_b128 v[112:115], v188 offset:4096
	;; [unrolled: 1-line block ×6, first 2 shown]
                                        ; implicit-def: $vgpr100_vgpr101
                                        ; implicit-def: $vgpr104_vgpr105
	s_and_saveexec_b32 s0, vcc_lo
	s_cbranch_execz .LBB0_3
; %bb.2:
	ds_read_b128 v[120:123], v188 offset:1792
	ds_read_b128 v[136:139], v188 offset:3840
	;; [unrolled: 1-line block ×7, first 2 shown]
.LBB0_3:
	s_or_b32 exec_lo, exec_lo, s0
	v_mad_u64_u32 v[145:146], null, 0x60, v187, s[14:15]
	s_mov_b32 s26, 0x37e14327
	s_mov_b32 s20, 0x36b3c0b5
	;; [unrolled: 1-line block ×6, first 2 shown]
	v_add_co_u32 v92, s0, 0x7e0, v145
	v_add_co_ci_u32_e64 v93, s0, 0, v146, s0
	s_mov_b32 s23, 0xbfe11646
	s_mov_b32 s5, 0x3febfeb5
	;; [unrolled: 1-line block ×3, first 2 shown]
	s_clause 0x3
	global_load_dwordx4 v[88:91], v[92:93], off offset:48
	global_load_dwordx4 v[92:95], v[92:93], off offset:32
	;; [unrolled: 1-line block ×4, first 2 shown]
	s_mov_b32 s18, 0xb247c609
	s_mov_b32 s25, 0xbff2aaaa
	;; [unrolled: 1-line block ×6, first 2 shown]
	s_waitcnt vmcnt(0) lgkmcnt(5)
	v_mul_f64 v[147:148], v[118:119], v[110:111]
	v_fma_f64 v[147:148], v[116:117], v[108:109], -v[147:148]
	v_mul_f64 v[116:117], v[116:117], v[110:111]
	v_fma_f64 v[149:150], v[118:119], v[108:109], v[116:117]
	s_waitcnt lgkmcnt(4)
	v_mul_f64 v[116:117], v[114:115], v[98:99]
	v_fma_f64 v[151:152], v[112:113], v[96:97], -v[116:117]
	v_mul_f64 v[112:113], v[112:113], v[98:99]
	v_fma_f64 v[153:154], v[114:115], v[96:97], v[112:113]
	s_waitcnt lgkmcnt(3)
	v_mul_f64 v[112:113], v[70:71], v[94:95]
	v_fma_f64 v[155:156], v[68:69], v[92:93], -v[112:113]
	v_mul_f64 v[68:69], v[68:69], v[94:95]
	v_fma_f64 v[157:158], v[70:71], v[92:93], v[68:69]
	s_waitcnt lgkmcnt(2)
	v_mul_f64 v[68:69], v[62:63], v[90:91]
	v_fma_f64 v[159:160], v[60:61], v[88:89], -v[68:69]
	v_mul_f64 v[60:61], v[60:61], v[90:91]
	v_fma_f64 v[161:162], v[62:63], v[88:89], v[60:61]
	v_add_co_u32 v60, s0, 0x820, v145
	v_add_co_ci_u32_e64 v61, s0, 0, v146, s0
	v_add_co_u32 v62, s0, 0x800, v145
	v_add_co_ci_u32_e64 v63, s0, 0, v146, s0
	s_clause 0x1
	global_load_dwordx4 v[112:115], v[62:63], off offset:32
	global_load_dwordx4 v[116:119], v[60:61], off offset:16
	s_waitcnt vmcnt(1) lgkmcnt(1)
	v_mul_f64 v[60:61], v[58:59], v[114:115]
	v_fma_f64 v[145:146], v[56:57], v[112:113], -v[60:61]
	v_mul_f64 v[56:57], v[56:57], v[114:115]
	v_fma_f64 v[163:164], v[58:59], v[112:113], v[56:57]
	s_waitcnt vmcnt(0) lgkmcnt(0)
	v_mul_f64 v[56:57], v[50:51], v[118:119]
	v_fma_f64 v[165:166], v[48:49], v[116:117], -v[56:57]
	v_mul_f64 v[48:49], v[48:49], v[118:119]
	v_fma_f64 v[167:168], v[50:51], v[116:117], v[48:49]
	v_and_b32_e32 v48, 0x7f, v144
	v_mad_u64_u32 v[169:170], null, 0x60, v48, s[14:15]
	s_mov_b32 s14, 0x5476071b
	s_mov_b32 s15, 0x3fe77f67
	;; [unrolled: 1-line block ×3, first 2 shown]
	v_add_co_u32 v56, s0, 0x7e0, v169
	v_add_co_ci_u32_e64 v57, s0, 0, v170, s0
	s_clause 0x3
	global_load_dwordx4 v[48:51], v[56:57], off offset:48
	global_load_dwordx4 v[56:59], v[56:57], off offset:32
	;; [unrolled: 1-line block ×4, first 2 shown]
	s_waitcnt vmcnt(0)
	v_mul_f64 v[171:172], v[138:139], v[70:71]
	v_fma_f64 v[172:173], v[136:137], v[68:69], -v[171:172]
	v_mul_f64 v[136:137], v[136:137], v[70:71]
	v_fma_f64 v[174:175], v[138:139], v[68:69], v[136:137]
	v_mul_f64 v[136:137], v[142:143], v[62:63]
	v_mul_f64 v[138:139], v[140:141], v[62:63]
	v_fma_f64 v[136:137], v[140:141], v[60:61], -v[136:137]
	v_mul_f64 v[140:141], v[102:103], v[58:59]
	v_fma_f64 v[138:139], v[142:143], v[60:61], v[138:139]
	v_fma_f64 v[140:141], v[100:101], v[56:57], -v[140:141]
	v_mul_f64 v[100:101], v[100:101], v[58:59]
	v_fma_f64 v[142:143], v[102:103], v[56:57], v[100:101]
	v_mul_f64 v[100:101], v[106:107], v[50:51]
	v_fma_f64 v[181:182], v[104:105], v[48:49], -v[100:101]
	v_mul_f64 v[100:101], v[104:105], v[50:51]
	v_add_co_u32 v104, s0, 0x820, v169
	v_add_co_ci_u32_e64 v105, s0, 0, v170, s0
	v_fma_f64 v[183:184], v[106:107], v[48:49], v[100:101]
	v_add_co_u32 v100, s0, 0x800, v169
	v_add_co_ci_u32_e64 v101, s0, 0, v170, s0
	s_clause 0x1
	global_load_dwordx4 v[100:103], v[100:101], off offset:32
	global_load_dwordx4 v[104:107], v[104:105], off offset:16
	s_mov_b32 s0, 0x37c3f68c
	s_mov_b32 s1, 0x3fdc38aa
	s_waitcnt vmcnt(1)
	v_mul_f64 v[169:170], v[130:131], v[102:103]
	v_fma_f64 v[185:186], v[128:129], v[100:101], -v[169:170]
	v_mul_f64 v[128:129], v[128:129], v[102:103]
	v_add_f64 v[169:170], v[149:150], v[167:168]
	v_add_f64 v[149:150], v[149:150], -v[167:168]
	v_add_f64 v[167:168], v[153:154], v[163:164]
	v_fma_f64 v[128:129], v[130:131], v[100:101], v[128:129]
	s_waitcnt vmcnt(0)
	v_mul_f64 v[130:131], v[134:135], v[106:107]
	v_add_f64 v[219:220], v[167:168], -v[169:170]
	v_fma_f64 v[130:131], v[132:133], v[104:105], -v[130:131]
	v_mul_f64 v[132:133], v[132:133], v[106:107]
	v_fma_f64 v[132:133], v[134:135], v[104:105], v[132:133]
	v_add_f64 v[134:135], v[147:148], v[165:166]
	v_add_f64 v[147:148], v[147:148], -v[165:166]
	v_add_f64 v[165:166], v[151:152], v[145:146]
	v_add_f64 v[144:145], v[151:152], -v[145:146]
	v_add_f64 v[151:152], v[153:154], -v[163:164]
	v_add_f64 v[153:154], v[155:156], v[159:160]
	v_add_f64 v[163:164], v[157:158], v[161:162]
	v_add_f64 v[155:156], v[159:160], -v[155:156]
	v_add_f64 v[157:158], v[161:162], -v[157:158]
	v_add_f64 v[161:162], v[167:168], v[169:170]
	v_add_f64 v[159:160], v[165:166], v[134:135]
	v_add_f64 v[217:218], v[165:166], -v[134:135]
	v_add_f64 v[229:230], v[144:145], -v[147:148]
	v_add_f64 v[134:135], v[134:135], -v[153:154]
	v_add_f64 v[169:170], v[169:170], -v[163:164]
	v_add_f64 v[165:166], v[153:154], -v[165:166]
	v_add_f64 v[167:168], v[163:164], -v[167:168]
	v_add_f64 v[221:222], v[155:156], v[144:145]
	v_add_f64 v[223:224], v[157:158], v[151:152]
	v_add_f64 v[225:226], v[155:156], -v[144:145]
	v_add_f64 v[227:228], v[157:158], -v[151:152]
	;; [unrolled: 1-line block ×5, first 2 shown]
	v_add_f64 v[153:154], v[153:154], v[159:160]
	v_add_f64 v[159:160], v[163:164], v[161:162]
	v_mul_f64 v[163:164], v[167:168], s[20:21]
	v_add_f64 v[161:162], v[221:222], v[147:148]
	v_add_f64 v[148:149], v[223:224], v[149:150]
	v_mul_f64 v[223:224], v[229:230], s[4:5]
	v_mul_f64 v[221:222], v[227:228], s[22:23]
	v_add_f64 v[144:145], v[124:125], v[153:154]
	v_add_f64 v[146:147], v[126:127], v[159:160]
	v_mul_f64 v[124:125], v[134:135], s[26:27]
	v_mul_f64 v[126:127], v[169:170], s[26:27]
	;; [unrolled: 1-line block ×5, first 2 shown]
	v_fma_f64 v[163:164], v[219:220], s[14:15], -v[163:164]
	v_fma_f64 v[150:151], v[151:152], s[4:5], -v[221:222]
	v_fma_f64 v[153:154], v[153:154], s[24:25], v[144:145]
	v_fma_f64 v[159:160], v[159:160], s[24:25], v[146:147]
	;; [unrolled: 1-line block ×4, first 2 shown]
	v_fma_f64 v[134:135], v[217:218], s[14:15], -v[134:135]
	v_fma_f64 v[124:125], v[217:218], s[16:17], -v[124:125]
	;; [unrolled: 1-line block ×3, first 2 shown]
	v_fma_f64 v[217:218], v[155:156], s[18:19], v[169:170]
	v_fma_f64 v[219:220], v[157:158], s[18:19], v[221:222]
	v_fma_f64 v[169:170], v[229:230], s[4:5], -v[169:170]
	v_fma_f64 v[155:156], v[155:156], s[6:7], -v[223:224]
	v_fma_f64 v[157:158], v[157:158], s[6:7], -v[225:226]
	v_fma_f64 v[150:151], v[148:149], s[0:1], v[150:151]
	v_add_f64 v[225:226], v[163:164], v[159:160]
	v_add_f64 v[221:222], v[165:166], v[153:154]
	;; [unrolled: 1-line block ×6, first 2 shown]
	v_fma_f64 v[217:218], v[161:162], s[0:1], v[217:218]
	v_fma_f64 v[219:220], v[148:149], s[0:1], v[219:220]
	;; [unrolled: 1-line block ×5, first 2 shown]
	v_add_f64 v[160:161], v[134:135], -v[150:151]
	v_add_f64 v[156:157], v[150:151], v[134:135]
	v_add_f64 v[134:135], v[136:137], v[185:186]
	v_add_f64 v[136:137], v[136:137], -v[185:186]
	v_add_f64 v[168:169], v[219:220], v[221:222]
	v_add_f64 v[162:163], v[152:153], v[225:226]
	v_add_f64 v[166:167], v[126:127], -v[154:155]
	v_add_f64 v[164:165], v[148:149], v[124:125]
	v_add_f64 v[158:159], v[225:226], -v[152:153]
	v_add_f64 v[152:153], v[124:125], -v[148:149]
	v_add_f64 v[154:155], v[154:155], v[126:127]
	v_add_f64 v[124:125], v[172:173], v[130:131]
	;; [unrolled: 1-line block ×3, first 2 shown]
	v_add_f64 v[130:131], v[172:173], -v[130:131]
	v_add_f64 v[172:173], v[138:139], v[128:129]
	v_add_f64 v[132:133], v[174:175], -v[132:133]
	v_add_f64 v[128:129], v[138:139], -v[128:129]
	v_add_f64 v[138:139], v[140:141], v[181:182]
	v_add_f64 v[174:175], v[142:143], v[183:184]
	v_add_f64 v[140:141], v[181:182], -v[140:141]
	v_add_f64 v[142:143], v[183:184], -v[142:143]
	;; [unrolled: 1-line block ×4, first 2 shown]
	v_add_f64 v[150:151], v[217:218], v[223:224]
	ds_write_b128 v188, v[144:147]
	ds_write_b128 v188, v[168:171] offset:2048
	ds_write_b128 v188, v[164:167] offset:4096
	;; [unrolled: 1-line block ×6, first 2 shown]
	v_add_f64 v[181:182], v[134:135], v[124:125]
	v_add_f64 v[183:184], v[172:173], v[126:127]
	v_add_f64 v[185:186], v[134:135], -v[124:125]
	v_add_f64 v[217:218], v[172:173], -v[126:127]
	;; [unrolled: 1-line block ×6, first 2 shown]
	v_add_f64 v[172:173], v[140:141], v[136:137]
	v_add_f64 v[221:222], v[142:143], v[128:129]
	v_add_f64 v[223:224], v[140:141], -v[136:137]
	v_add_f64 v[225:226], v[142:143], -v[128:129]
	;; [unrolled: 1-line block ×6, first 2 shown]
	v_add_f64 v[138:139], v[138:139], v[181:182]
	v_add_f64 v[181:182], v[174:175], v[183:184]
	;; [unrolled: 1-line block ×4, first 2 shown]
	v_mul_f64 v[183:184], v[223:224], s[22:23]
	v_mul_f64 v[221:222], v[225:226], s[22:23]
	;; [unrolled: 1-line block ×4, first 2 shown]
	v_add_f64 v[172:173], v[120:121], v[138:139]
	v_add_f64 v[174:175], v[122:123], v[181:182]
	v_mul_f64 v[120:121], v[124:125], s[26:27]
	v_mul_f64 v[122:123], v[126:127], s[26:27]
	;; [unrolled: 1-line block ×4, first 2 shown]
	v_fma_f64 v[136:137], v[136:137], s[4:5], -v[183:184]
	v_fma_f64 v[128:129], v[128:129], s[4:5], -v[221:222]
	v_fma_f64 v[138:139], v[138:139], s[24:25], v[172:173]
	v_fma_f64 v[181:182], v[181:182], s[24:25], v[174:175]
	v_fma_f64 v[134:135], v[134:135], s[20:21], v[120:121]
	v_fma_f64 v[219:220], v[219:220], s[20:21], v[122:123]
	v_fma_f64 v[124:125], v[185:186], s[14:15], -v[124:125]
	v_fma_f64 v[126:127], v[217:218], s[14:15], -v[126:127]
	;; [unrolled: 1-line block ×4, first 2 shown]
	v_fma_f64 v[185:186], v[140:141], s[18:19], v[183:184]
	v_fma_f64 v[217:218], v[142:143], s[18:19], v[221:222]
	v_fma_f64 v[140:141], v[140:141], s[6:7], -v[223:224]
	v_fma_f64 v[142:143], v[142:143], s[6:7], -v[225:226]
	v_fma_f64 v[136:137], v[130:131], s[0:1], v[136:137]
	v_fma_f64 v[223:224], v[132:133], s[0:1], v[128:129]
	v_add_f64 v[183:184], v[134:135], v[138:139]
	v_add_f64 v[219:220], v[219:220], v[181:182]
	;; [unrolled: 1-line block ×6, first 2 shown]
	v_fma_f64 v[185:186], v[130:131], s[0:1], v[185:186]
	v_fma_f64 v[217:218], v[132:133], s[0:1], v[217:218]
	;; [unrolled: 1-line block ×4, first 2 shown]
	v_add_f64 v[128:129], v[134:135], -v[223:224]
	v_add_f64 v[130:131], v[136:137], v[221:222]
	v_add_f64 v[132:133], v[223:224], v[134:135]
	v_add_f64 v[134:135], v[221:222], -v[136:137]
	v_add_f64 v[122:123], v[219:220], -v[185:186]
	v_add_f64 v[120:121], v[217:218], v[183:184]
	v_add_f64 v[126:127], v[181:182], -v[140:141]
	v_add_f64 v[124:125], v[142:143], v[138:139]
	;; [unrolled: 2-line block ×4, first 2 shown]
	s_and_saveexec_b32 s0, vcc_lo
	s_cbranch_execz .LBB0_5
; %bb.4:
	ds_write_b128 v188, v[172:175] offset:1792
	ds_write_b128 v188, v[120:123] offset:3840
	ds_write_b128 v188, v[124:127] offset:5888
	ds_write_b128 v188, v[128:131] offset:7936
	ds_write_b128 v188, v[132:135] offset:9984
	ds_write_b128 v188, v[136:139] offset:12032
	ds_write_b128 v188, v[140:143] offset:14080
.LBB0_5:
	s_or_b32 exec_lo, exec_lo, s0
	v_lshlrev_b32_e32 v144, 4, v187
	s_waitcnt lgkmcnt(0)
	s_barrier
	buffer_gl0_inv
	v_add_co_u32 v217, s0, s12, v144
	v_add_co_ci_u32_e64 v218, null, s13, 0, s0
	v_add_co_u32 v148, s0, 0x3800, v217
	v_add_co_ci_u32_e64 v149, s0, 0, v218, s0
	s_clause 0x1
	global_load_dwordx4 v[144:147], v[148:149], off
	global_load_dwordx4 v[148:151], v[148:149], off offset:1792
	ds_read_b128 v[152:155], v188
	ds_read_b128 v[156:159], v188 offset:1792
	s_waitcnt vmcnt(1) lgkmcnt(1)
	v_mul_f64 v[160:161], v[154:155], v[146:147]
	v_mul_f64 v[146:147], v[152:153], v[146:147]
	v_fma_f64 v[152:153], v[152:153], v[144:145], -v[160:161]
	v_fma_f64 v[154:155], v[154:155], v[144:145], v[146:147]
	v_add_co_u32 v144, s0, 0x5000, v217
	v_add_co_ci_u32_e64 v145, s0, 0, v218, s0
	v_add_co_u32 v160, s0, 0x5800, v217
	v_add_co_ci_u32_e64 v161, s0, 0, v218, s0
	s_clause 0x1
	global_load_dwordx4 v[144:147], v[144:145], off offset:1024
	global_load_dwordx4 v[160:163], v[160:161], off offset:768
	ds_read_b128 v[164:167], v188 offset:7168
	ds_read_b128 v[168:171], v188 offset:8960
	s_waitcnt vmcnt(1) lgkmcnt(1)
	v_mul_f64 v[172:173], v[166:167], v[146:147]
	v_mul_f64 v[146:147], v[164:165], v[146:147]
	v_fma_f64 v[164:165], v[164:165], v[144:145], -v[172:173]
	v_fma_f64 v[166:167], v[166:167], v[144:145], v[146:147]
	v_mul_f64 v[144:145], v[158:159], v[150:151]
	v_mul_f64 v[146:147], v[156:157], v[150:151]
	s_waitcnt vmcnt(0) lgkmcnt(0)
	v_mul_f64 v[150:151], v[168:169], v[162:163]
	v_fma_f64 v[144:145], v[156:157], v[148:149], -v[144:145]
	v_fma_f64 v[146:147], v[158:159], v[148:149], v[146:147]
	v_mul_f64 v[148:149], v[170:171], v[162:163]
	v_add_co_u32 v156, s0, 0x4000, v217
	v_add_co_ci_u32_e64 v157, s0, 0, v218, s0
	v_fma_f64 v[150:151], v[170:171], v[160:161], v[150:151]
	v_fma_f64 v[148:149], v[168:169], v[160:161], -v[148:149]
	v_add_co_u32 v160, s0, 0x6000, v217
	v_add_co_ci_u32_e64 v161, s0, 0, v218, s0
	s_clause 0x1
	global_load_dwordx4 v[156:159], v[156:157], off offset:1536
	global_load_dwordx4 v[160:163], v[160:161], off offset:512
	ds_read_b128 v[168:171], v188 offset:3584
	ds_read_b128 v[172:175], v188 offset:5376
	s_waitcnt vmcnt(1) lgkmcnt(1)
	v_mul_f64 v[181:182], v[170:171], v[158:159]
	v_mul_f64 v[158:159], v[168:169], v[158:159]
	v_fma_f64 v[168:169], v[168:169], v[156:157], -v[181:182]
	v_fma_f64 v[170:171], v[170:171], v[156:157], v[158:159]
	ds_read_b128 v[156:159], v188 offset:10752
	ds_read_b128 v[181:184], v188 offset:12544
	s_waitcnt vmcnt(0) lgkmcnt(1)
	v_mul_f64 v[185:186], v[158:159], v[162:163]
	v_mul_f64 v[162:163], v[156:157], v[162:163]
	v_fma_f64 v[156:157], v[156:157], v[160:161], -v[185:186]
	v_fma_f64 v[158:159], v[158:159], v[160:161], v[162:163]
	v_add_co_u32 v160, s0, 0x4800, v217
	v_add_co_ci_u32_e64 v161, s0, 0, v218, s0
	v_add_co_u32 v185, s0, 0x6800, v217
	v_add_co_ci_u32_e64 v186, s0, 0, v218, s0
	s_clause 0x1
	global_load_dwordx4 v[160:163], v[160:161], off offset:1280
	global_load_dwordx4 v[217:220], v[185:186], off offset:256
	s_waitcnt vmcnt(1)
	v_mul_f64 v[185:186], v[174:175], v[162:163]
	v_mul_f64 v[162:163], v[172:173], v[162:163]
	v_fma_f64 v[172:173], v[172:173], v[160:161], -v[185:186]
	v_fma_f64 v[174:175], v[174:175], v[160:161], v[162:163]
	s_waitcnt vmcnt(0) lgkmcnt(0)
	v_mul_f64 v[160:161], v[183:184], v[219:220]
	v_mul_f64 v[162:163], v[181:182], v[219:220]
	v_fma_f64 v[160:161], v[181:182], v[217:218], -v[160:161]
	v_fma_f64 v[162:163], v[183:184], v[217:218], v[162:163]
	ds_write_b128 v188, v[152:155]
	ds_write_b128 v188, v[164:167] offset:7168
	ds_write_b128 v188, v[144:147] offset:1792
	;; [unrolled: 1-line block ×7, first 2 shown]
	s_waitcnt lgkmcnt(0)
	s_barrier
	buffer_gl0_inv
	ds_read_b128 v[144:147], v188 offset:7168
	ds_read_b128 v[148:151], v188
	ds_read_b128 v[152:155], v188 offset:1792
	ds_read_b128 v[156:159], v188 offset:8960
	;; [unrolled: 1-line block ×6, first 2 shown]
	s_waitcnt lgkmcnt(0)
	s_barrier
	buffer_gl0_inv
	v_add_f64 v[144:145], v[148:149], -v[144:145]
	v_add_f64 v[146:147], v[150:151], -v[146:147]
	v_fma_f64 v[148:149], v[148:149], 2.0, -v[144:145]
	v_fma_f64 v[150:151], v[150:151], 2.0, -v[146:147]
	ds_write_b128 v206, v[144:147] offset:16
	ds_write_b128 v206, v[148:151]
	v_add_f64 v[144:145], v[152:153], -v[156:157]
	v_add_f64 v[146:147], v[154:155], -v[158:159]
	v_fma_f64 v[148:149], v[152:153], 2.0, -v[144:145]
	v_fma_f64 v[150:151], v[154:155], 2.0, -v[146:147]
	ds_write_b128 v200, v[148:151]
	ds_write_b128 v200, v[144:147] offset:16
	v_add_f64 v[144:145], v[160:161], -v[168:169]
	v_add_f64 v[146:147], v[162:163], -v[170:171]
	v_fma_f64 v[148:149], v[160:161], 2.0, -v[144:145]
	v_fma_f64 v[150:151], v[162:163], 2.0, -v[146:147]
	ds_write_b128 v196, v[148:151]
	ds_write_b128 v196, v[144:147] offset:16
	v_add_f64 v[144:145], v[164:165], -v[172:173]
	v_add_f64 v[146:147], v[166:167], -v[174:175]
	v_fma_f64 v[148:149], v[164:165], 2.0, -v[144:145]
	v_fma_f64 v[150:151], v[166:167], 2.0, -v[146:147]
	ds_write_b128 v193, v[148:151]
	ds_write_b128 v193, v[144:147] offset:16
	s_waitcnt lgkmcnt(0)
	s_barrier
	buffer_gl0_inv
	ds_read_b128 v[144:147], v188 offset:7168
	ds_read_b128 v[148:151], v188 offset:8960
	s_waitcnt lgkmcnt(1)
	v_mul_f64 v[152:153], v[54:55], v[146:147]
	v_fma_f64 v[152:153], v[52:53], v[144:145], v[152:153]
	v_mul_f64 v[144:145], v[54:55], v[144:145]
	v_fma_f64 v[154:155], v[52:53], v[146:147], -v[144:145]
	s_waitcnt lgkmcnt(0)
	v_mul_f64 v[144:145], v[54:55], v[150:151]
	v_fma_f64 v[160:161], v[52:53], v[148:149], v[144:145]
	v_mul_f64 v[144:145], v[54:55], v[148:149]
	v_fma_f64 v[162:163], v[52:53], v[150:151], -v[144:145]
	ds_read_b128 v[144:147], v188 offset:10752
	ds_read_b128 v[148:151], v188 offset:12544
	s_waitcnt lgkmcnt(1)
	v_mul_f64 v[156:157], v[54:55], v[146:147]
	v_fma_f64 v[164:165], v[52:53], v[144:145], v[156:157]
	v_mul_f64 v[144:145], v[54:55], v[144:145]
	v_fma_f64 v[166:167], v[52:53], v[146:147], -v[144:145]
	s_waitcnt lgkmcnt(0)
	v_mul_f64 v[144:145], v[54:55], v[150:151]
	v_mul_f64 v[54:55], v[54:55], v[148:149]
	v_fma_f64 v[168:169], v[52:53], v[148:149], v[144:145]
	v_fma_f64 v[170:171], v[52:53], v[150:151], -v[54:55]
	ds_read_b128 v[52:55], v188
	ds_read_b128 v[144:147], v188 offset:1792
	s_waitcnt lgkmcnt(1)
	v_add_f64 v[148:149], v[52:53], -v[152:153]
	v_add_f64 v[150:151], v[54:55], -v[154:155]
	ds_read_b128 v[152:155], v188 offset:3584
	ds_read_b128 v[156:159], v188 offset:5376
	s_waitcnt lgkmcnt(0)
	s_barrier
	buffer_gl0_inv
	v_fma_f64 v[52:53], v[52:53], 2.0, -v[148:149]
	v_fma_f64 v[54:55], v[54:55], 2.0, -v[150:151]
	ds_write_b128 v205, v[148:151] offset:32
	ds_write_b128 v205, v[52:55]
	v_add_f64 v[52:53], v[144:145], -v[160:161]
	v_add_f64 v[54:55], v[146:147], -v[162:163]
	v_fma_f64 v[144:145], v[144:145], 2.0, -v[52:53]
	v_fma_f64 v[146:147], v[146:147], 2.0, -v[54:55]
	ds_write_b128 v199, v[144:147]
	ds_write_b128 v199, v[52:55] offset:32
	v_add_f64 v[52:53], v[152:153], -v[164:165]
	v_add_f64 v[54:55], v[154:155], -v[166:167]
	v_fma_f64 v[144:145], v[152:153], 2.0, -v[52:53]
	v_fma_f64 v[146:147], v[154:155], 2.0, -v[54:55]
	ds_write_b128 v195, v[144:147]
	ds_write_b128 v195, v[52:55] offset:32
	v_add_f64 v[52:53], v[156:157], -v[168:169]
	v_add_f64 v[54:55], v[158:159], -v[170:171]
	v_fma_f64 v[144:145], v[156:157], 2.0, -v[52:53]
	v_fma_f64 v[146:147], v[158:159], 2.0, -v[54:55]
	ds_write_b128 v192, v[144:147]
	ds_write_b128 v192, v[52:55] offset:32
	s_waitcnt lgkmcnt(0)
	s_barrier
	buffer_gl0_inv
	ds_read_b128 v[52:55], v188 offset:7168
	ds_read_b128 v[144:147], v188 offset:8960
	s_waitcnt lgkmcnt(1)
	v_mul_f64 v[148:149], v[46:47], v[54:55]
	v_fma_f64 v[148:149], v[44:45], v[52:53], v[148:149]
	v_mul_f64 v[52:53], v[46:47], v[52:53]
	v_fma_f64 v[150:151], v[44:45], v[54:55], -v[52:53]
	s_waitcnt lgkmcnt(0)
	v_mul_f64 v[52:53], v[46:47], v[146:147]
	v_fma_f64 v[156:157], v[44:45], v[144:145], v[52:53]
	v_mul_f64 v[52:53], v[46:47], v[144:145]
	v_fma_f64 v[158:159], v[44:45], v[146:147], -v[52:53]
	ds_read_b128 v[52:55], v188 offset:10752
	ds_read_b128 v[144:147], v188 offset:12544
	s_waitcnt lgkmcnt(1)
	v_mul_f64 v[152:153], v[46:47], v[54:55]
	v_fma_f64 v[160:161], v[44:45], v[52:53], v[152:153]
	v_mul_f64 v[52:53], v[46:47], v[52:53]
	v_fma_f64 v[162:163], v[44:45], v[54:55], -v[52:53]
	s_waitcnt lgkmcnt(0)
	v_mul_f64 v[52:53], v[46:47], v[146:147]
	v_mul_f64 v[46:47], v[46:47], v[144:145]
	v_fma_f64 v[164:165], v[44:45], v[144:145], v[52:53]
	v_fma_f64 v[166:167], v[44:45], v[146:147], -v[46:47]
	ds_read_b128 v[44:47], v188
	ds_read_b128 v[52:55], v188 offset:1792
	s_waitcnt lgkmcnt(1)
	v_add_f64 v[144:145], v[44:45], -v[148:149]
	v_add_f64 v[146:147], v[46:47], -v[150:151]
	ds_read_b128 v[148:151], v188 offset:3584
	ds_read_b128 v[152:155], v188 offset:5376
	s_waitcnt lgkmcnt(0)
	s_barrier
	buffer_gl0_inv
	;; [unrolled: 59-line block ×3, first 2 shown]
	v_fma_f64 v[40:41], v[40:41], 2.0, -v[52:53]
	v_fma_f64 v[42:43], v[42:43], 2.0, -v[54:55]
	ds_write_b128 v201, v[52:55] offset:128
	ds_write_b128 v201, v[40:43]
	v_add_f64 v[40:41], v[44:45], -v[152:153]
	v_add_f64 v[42:43], v[46:47], -v[154:155]
	;; [unrolled: 1-line block ×4, first 2 shown]
	v_fma_f64 v[44:45], v[44:45], 2.0, -v[40:41]
	v_fma_f64 v[46:47], v[46:47], 2.0, -v[42:43]
	ds_write_b128 v197, v[44:47]
	ds_write_b128 v197, v[40:43] offset:128
	v_add_f64 v[40:41], v[144:145], -v[156:157]
	v_add_f64 v[42:43], v[146:147], -v[158:159]
	v_fma_f64 v[44:45], v[144:145], 2.0, -v[40:41]
	v_fma_f64 v[46:47], v[146:147], 2.0, -v[42:43]
	;; [unrolled: 1-line block ×4, first 2 shown]
	ds_write_b128 v191, v[44:47]
	ds_write_b128 v191, v[40:43] offset:128
	ds_write_b128 v189, v[144:147]
	ds_write_b128 v189, v[52:55] offset:128
	s_waitcnt lgkmcnt(0)
	s_barrier
	buffer_gl0_inv
	ds_read_b128 v[40:43], v188 offset:7168
	ds_read_b128 v[44:47], v188 offset:8960
	s_waitcnt lgkmcnt(1)
	v_mul_f64 v[52:53], v[38:39], v[42:43]
	v_mul_f64 v[54:55], v[38:39], v[40:41]
	s_waitcnt lgkmcnt(0)
	v_mul_f64 v[144:145], v[38:39], v[46:47]
	v_fma_f64 v[52:53], v[36:37], v[40:41], v[52:53]
	v_mul_f64 v[40:41], v[38:39], v[44:45]
	v_fma_f64 v[54:55], v[36:37], v[42:43], -v[54:55]
	v_fma_f64 v[148:149], v[36:37], v[44:45], v[144:145]
	v_fma_f64 v[150:151], v[36:37], v[46:47], -v[40:41]
	ds_read_b128 v[40:43], v188 offset:10752
	ds_read_b128 v[44:47], v188 offset:12544
	s_waitcnt lgkmcnt(1)
	v_mul_f64 v[144:145], v[38:39], v[42:43]
	v_fma_f64 v[152:153], v[36:37], v[40:41], v[144:145]
	v_mul_f64 v[40:41], v[38:39], v[40:41]
	v_fma_f64 v[154:155], v[36:37], v[42:43], -v[40:41]
	s_waitcnt lgkmcnt(0)
	v_mul_f64 v[40:41], v[38:39], v[46:47]
	v_mul_f64 v[38:39], v[38:39], v[44:45]
	v_fma_f64 v[156:157], v[36:37], v[44:45], v[40:41]
	v_fma_f64 v[158:159], v[36:37], v[46:47], -v[38:39]
	ds_read_b128 v[36:39], v188
	ds_read_b128 v[40:43], v188 offset:1792
	s_waitcnt lgkmcnt(1)
	v_add_f64 v[44:45], v[36:37], -v[52:53]
	v_add_f64 v[46:47], v[38:39], -v[54:55]
	ds_read_b128 v[52:55], v188 offset:3584
	ds_read_b128 v[144:147], v188 offset:5376
	s_waitcnt lgkmcnt(0)
	s_barrier
	buffer_gl0_inv
	v_fma_f64 v[36:37], v[36:37], 2.0, -v[44:45]
	v_fma_f64 v[38:39], v[38:39], 2.0, -v[46:47]
	ds_write_b128 v212, v[44:47] offset:256
	ds_write_b128 v212, v[36:39]
	v_add_f64 v[36:37], v[40:41], -v[148:149]
	v_add_f64 v[38:39], v[42:43], -v[150:151]
	v_fma_f64 v[40:41], v[40:41], 2.0, -v[36:37]
	v_fma_f64 v[42:43], v[42:43], 2.0, -v[38:39]
	ds_write_b128 v211, v[40:43]
	ds_write_b128 v211, v[36:39] offset:256
	v_add_f64 v[36:37], v[52:53], -v[152:153]
	v_add_f64 v[38:39], v[54:55], -v[154:155]
	;; [unrolled: 1-line block ×4, first 2 shown]
	v_fma_f64 v[44:45], v[52:53], 2.0, -v[36:37]
	v_fma_f64 v[46:47], v[54:55], 2.0, -v[38:39]
	;; [unrolled: 1-line block ×4, first 2 shown]
	ds_write_b128 v208, v[44:47]
	ds_write_b128 v208, v[36:39] offset:256
	ds_write_b128 v204, v[52:55]
	ds_write_b128 v204, v[40:43] offset:256
	s_waitcnt lgkmcnt(0)
	s_barrier
	buffer_gl0_inv
	ds_read_b128 v[36:39], v188 offset:7168
	ds_read_b128 v[40:43], v188 offset:8960
	;; [unrolled: 1-line block ×4, first 2 shown]
	s_waitcnt lgkmcnt(3)
	v_mul_f64 v[144:145], v[66:67], v[38:39]
	v_mul_f64 v[146:147], v[66:67], v[36:37]
	s_waitcnt lgkmcnt(1)
	v_mul_f64 v[148:149], v[66:67], v[46:47]
	s_waitcnt lgkmcnt(0)
	v_mul_f64 v[150:151], v[177:178], v[54:55]
	v_mul_f64 v[152:153], v[177:178], v[52:53]
	v_fma_f64 v[144:145], v[64:65], v[36:37], v[144:145]
	v_mul_f64 v[36:37], v[66:67], v[44:45]
	v_fma_f64 v[146:147], v[64:65], v[38:39], -v[146:147]
	v_mul_f64 v[38:39], v[34:35], v[42:43]
	v_fma_f64 v[148:149], v[64:65], v[44:45], v[148:149]
	v_mul_f64 v[44:45], v[34:35], v[40:41]
	v_fma_f64 v[154:155], v[32:33], v[52:53], v[150:151]
	v_fma_f64 v[156:157], v[32:33], v[54:55], -v[152:153]
	ds_read_b128 v[52:55], v188 offset:3584
	v_fma_f64 v[46:47], v[64:65], v[46:47], -v[36:37]
	ds_read_b128 v[34:37], v188
	v_fma_f64 v[64:65], v[179:180], v[40:41], v[38:39]
	ds_read_b128 v[38:41], v188 offset:1792
	v_fma_f64 v[66:67], v[179:180], v[42:43], -v[44:45]
	s_waitcnt lgkmcnt(1)
	v_add_f64 v[42:43], v[34:35], -v[144:145]
	v_add_f64 v[44:45], v[36:37], -v[146:147]
	ds_read_b128 v[144:147], v188 offset:5376
	s_waitcnt lgkmcnt(1)
	v_add_f64 v[64:65], v[38:39], -v[64:65]
	v_add_f64 v[148:149], v[52:53], -v[148:149]
	;; [unrolled: 1-line block ×4, first 2 shown]
	s_waitcnt lgkmcnt(0)
	s_barrier
	buffer_gl0_inv
	v_add_f64 v[152:153], v[144:145], -v[154:155]
	v_add_f64 v[154:155], v[146:147], -v[156:157]
	v_fma_f64 v[32:33], v[34:35], 2.0, -v[42:43]
	v_fma_f64 v[34:35], v[36:37], 2.0, -v[44:45]
	;; [unrolled: 1-line block ×8, first 2 shown]
	ds_write_b128 v216, v[42:45] offset:512
	ds_write_b128 v216, v[32:35]
	ds_write_b128 v215, v[36:39]
	ds_write_b128 v215, v[64:67] offset:512
	ds_write_b128 v214, v[52:55]
	ds_write_b128 v214, v[148:151] offset:512
	;; [unrolled: 2-line block ×3, first 2 shown]
	s_waitcnt lgkmcnt(0)
	s_barrier
	buffer_gl0_inv
	ds_read_b128 v[32:35], v188 offset:7168
	ds_read_b128 v[36:39], v188 offset:8960
	;; [unrolled: 1-line block ×4, first 2 shown]
	s_waitcnt lgkmcnt(3)
	v_mul_f64 v[52:53], v[86:87], v[34:35]
	v_mul_f64 v[54:55], v[86:87], v[32:33]
	s_waitcnt lgkmcnt(2)
	v_mul_f64 v[86:87], v[82:83], v[38:39]
	v_mul_f64 v[82:83], v[82:83], v[36:37]
	;; [unrolled: 3-line block ×4, first 2 shown]
	v_fma_f64 v[32:33], v[84:85], v[32:33], v[52:53]
	v_fma_f64 v[34:35], v[84:85], v[34:35], -v[54:55]
	v_fma_f64 v[84:85], v[80:81], v[36:37], v[86:87]
	v_fma_f64 v[80:81], v[80:81], v[38:39], -v[82:83]
	ds_read_b128 v[52:55], v188
	ds_read_b128 v[64:67], v188 offset:1792
	v_fma_f64 v[82:83], v[76:77], v[40:41], v[144:145]
	v_fma_f64 v[78:79], v[76:77], v[42:43], -v[78:79]
	v_fma_f64 v[86:87], v[72:73], v[44:45], v[146:147]
	ds_read_b128 v[36:39], v188 offset:3584
	ds_read_b128 v[40:43], v188 offset:5376
	v_fma_f64 v[144:145], v[72:73], v[46:47], -v[74:75]
	s_waitcnt lgkmcnt(0)
	s_barrier
	buffer_gl0_inv
	v_add_f64 v[44:45], v[52:53], -v[32:33]
	v_add_f64 v[46:47], v[54:55], -v[34:35]
	v_add_f64 v[72:73], v[64:65], -v[84:85]
	v_add_f64 v[74:75], v[66:67], -v[80:81]
	v_add_f64 v[76:77], v[36:37], -v[82:83]
	v_add_f64 v[78:79], v[38:39], -v[78:79]
	v_add_f64 v[32:33], v[40:41], -v[86:87]
	v_add_f64 v[34:35], v[42:43], -v[144:145]
	v_fma_f64 v[52:53], v[52:53], 2.0, -v[44:45]
	v_fma_f64 v[54:55], v[54:55], 2.0, -v[46:47]
	;; [unrolled: 1-line block ×8, first 2 shown]
	ds_write_b128 v210, v[44:47] offset:1024
	ds_write_b128 v210, v[52:55]
	ds_write_b128 v209, v[64:67]
	ds_write_b128 v209, v[72:75] offset:1024
	ds_write_b128 v207, v[36:39]
	ds_write_b128 v207, v[76:79] offset:1024
	;; [unrolled: 2-line block ×3, first 2 shown]
	s_waitcnt lgkmcnt(0)
	s_barrier
	buffer_gl0_inv
	ds_read_b128 v[36:39], v188
	ds_read_b128 v[72:75], v188 offset:2048
	ds_read_b128 v[64:67], v188 offset:4096
	ds_read_b128 v[44:47], v188 offset:6144
	ds_read_b128 v[40:43], v188 offset:8192
	ds_read_b128 v[52:55], v188 offset:10240
	ds_read_b128 v[76:79], v188 offset:12288
	s_and_saveexec_b32 s0, vcc_lo
	s_cbranch_execz .LBB0_7
; %bb.6:
	ds_read_b128 v[32:35], v188 offset:1792
	ds_read_b128 v[120:123], v188 offset:3840
	;; [unrolled: 1-line block ×7, first 2 shown]
.LBB0_7:
	s_or_b32 exec_lo, exec_lo, s0
	s_waitcnt lgkmcnt(5)
	v_mul_f64 v[80:81], v[110:111], v[74:75]
	v_mul_f64 v[82:83], v[110:111], v[72:73]
	s_waitcnt lgkmcnt(4)
	v_mul_f64 v[84:85], v[98:99], v[66:67]
	v_mul_f64 v[86:87], v[98:99], v[64:65]
	;; [unrolled: 3-line block ×3, first 2 shown]
	v_mul_f64 v[118:119], v[114:115], v[54:55]
	v_mul_f64 v[114:115], v[114:115], v[52:53]
	v_mul_f64 v[144:145], v[94:95], v[46:47]
	v_mul_f64 v[94:95], v[94:95], v[44:45]
	v_mul_f64 v[146:147], v[90:91], v[42:43]
	v_mul_f64 v[90:91], v[90:91], v[40:41]
	s_mov_b32 s6, 0x37e14327
	s_mov_b32 s14, 0xe976ee23
	;; [unrolled: 1-line block ×10, first 2 shown]
	v_fma_f64 v[72:73], v[108:109], v[72:73], v[80:81]
	v_fma_f64 v[74:75], v[108:109], v[74:75], -v[82:83]
	v_fma_f64 v[64:65], v[96:97], v[64:65], v[84:85]
	v_fma_f64 v[66:67], v[96:97], v[66:67], -v[86:87]
	;; [unrolled: 2-line block ×6, first 2 shown]
	s_mov_b32 s13, 0xbff2aaaa
	s_mov_b32 s16, 0x5476071b
	;; [unrolled: 1-line block ×10, first 2 shown]
	v_add_f64 v[80:81], v[72:73], v[76:77]
	v_add_f64 v[82:83], v[74:75], v[78:79]
	;; [unrolled: 1-line block ×4, first 2 shown]
	v_add_f64 v[52:53], v[64:65], -v[52:53]
	v_add_f64 v[54:55], v[66:67], -v[54:55]
	v_add_f64 v[64:65], v[44:45], v[40:41]
	v_add_f64 v[66:67], v[46:47], v[42:43]
	v_add_f64 v[40:41], v[40:41], -v[44:45]
	v_add_f64 v[42:43], v[42:43], -v[46:47]
	;; [unrolled: 1-line block ×4, first 2 shown]
	v_add_f64 v[72:73], v[84:85], v[80:81]
	v_add_f64 v[74:75], v[86:87], v[82:83]
	v_add_f64 v[76:77], v[80:81], -v[64:65]
	v_add_f64 v[78:79], v[82:83], -v[66:67]
	;; [unrolled: 1-line block ×6, first 2 shown]
	v_add_f64 v[52:53], v[40:41], v[52:53]
	v_add_f64 v[54:55], v[42:43], v[54:55]
	v_add_f64 v[40:41], v[44:45], -v[40:41]
	v_add_f64 v[42:43], v[46:47], -v[42:43]
	;; [unrolled: 1-line block ×4, first 2 shown]
	v_add_f64 v[72:73], v[64:65], v[72:73]
	v_add_f64 v[74:75], v[66:67], v[74:75]
	v_add_f64 v[64:65], v[64:65], -v[84:85]
	v_add_f64 v[66:67], v[66:67], -v[86:87]
	v_mul_f64 v[76:77], v[76:77], s[6:7]
	v_mul_f64 v[78:79], v[78:79], s[6:7]
	;; [unrolled: 1-line block ×6, first 2 shown]
	v_add_f64 v[44:45], v[52:53], v[44:45]
	v_add_f64 v[46:47], v[54:55], v[46:47]
	;; [unrolled: 1-line block ×4, first 2 shown]
	v_mul_f64 v[84:85], v[64:65], s[4:5]
	v_mul_f64 v[86:87], v[66:67], s[4:5]
	v_fma_f64 v[52:53], v[64:65], s[4:5], v[76:77]
	v_fma_f64 v[54:55], v[66:67], s[4:5], v[78:79]
	;; [unrolled: 1-line block ×4, first 2 shown]
	v_fma_f64 v[88:89], v[92:93], s[0:1], -v[88:89]
	v_fma_f64 v[90:91], v[94:95], s[0:1], -v[90:91]
	;; [unrolled: 1-line block ×6, first 2 shown]
	v_fma_f64 v[72:73], v[72:73], s[12:13], v[36:37]
	v_fma_f64 v[74:75], v[74:75], s[12:13], v[38:39]
	v_fma_f64 v[80:81], v[80:81], s[16:17], -v[84:85]
	v_fma_f64 v[82:83], v[82:83], s[16:17], -v[86:87]
	v_fma_f64 v[84:85], v[44:45], s[24:25], v[64:65]
	v_fma_f64 v[86:87], v[46:47], s[24:25], v[66:67]
	;; [unrolled: 1-line block ×6, first 2 shown]
	v_add_f64 v[92:93], v[52:53], v[72:73]
	v_add_f64 v[94:95], v[54:55], v[74:75]
	;; [unrolled: 1-line block ×7, first 2 shown]
	v_add_f64 v[42:43], v[94:95], -v[84:85]
	v_add_f64 v[44:45], v[90:91], v[76:77]
	v_add_f64 v[46:47], v[78:79], -v[88:89]
	v_add_f64 v[52:53], v[72:73], -v[64:65]
	v_add_f64 v[54:55], v[66:67], v[74:75]
	v_add_f64 v[64:65], v[64:65], v[72:73]
	v_add_f64 v[66:67], v[74:75], -v[66:67]
	v_add_f64 v[72:73], v[76:77], -v[90:91]
	v_add_f64 v[74:75], v[88:89], v[78:79]
	v_add_f64 v[76:77], v[92:93], -v[86:87]
	v_add_f64 v[78:79], v[84:85], v[94:95]
	ds_write_b128 v188, v[36:39]
	ds_write_b128 v188, v[40:43] offset:2048
	ds_write_b128 v188, v[44:47] offset:4096
	;; [unrolled: 1-line block ×6, first 2 shown]
	s_and_saveexec_b32 s26, vcc_lo
	s_cbranch_execz .LBB0_9
; %bb.8:
	v_mul_f64 v[36:37], v[106:107], v[140:141]
	v_mul_f64 v[38:39], v[70:71], v[120:121]
	;; [unrolled: 1-line block ×12, first 2 shown]
	v_fma_f64 v[36:37], v[104:105], v[142:143], -v[36:37]
	v_fma_f64 v[38:39], v[68:69], v[122:123], -v[38:39]
	;; [unrolled: 1-line block ×4, first 2 shown]
	v_fma_f64 v[44:45], v[68:69], v[120:121], v[44:45]
	v_fma_f64 v[46:47], v[104:105], v[140:141], v[46:47]
	;; [unrolled: 1-line block ×6, first 2 shown]
	v_fma_f64 v[56:57], v[56:57], v[130:131], -v[58:59]
	v_fma_f64 v[48:49], v[48:49], v[134:135], -v[50:51]
	v_add_f64 v[50:51], v[38:39], v[36:37]
	v_add_f64 v[36:37], v[38:39], -v[36:37]
	v_add_f64 v[58:59], v[42:43], v[40:41]
	v_add_f64 v[40:41], v[42:43], -v[40:41]
	;; [unrolled: 2-line block ×4, first 2 shown]
	v_add_f64 v[68:69], v[60:61], -v[62:63]
	v_add_f64 v[60:61], v[62:63], v[60:61]
	v_add_f64 v[54:55], v[56:57], v[48:49]
	v_add_f64 v[48:49], v[48:49], -v[56:57]
	v_add_f64 v[46:47], v[58:59], v[50:51]
	v_add_f64 v[74:75], v[40:41], -v[36:37]
	;; [unrolled: 2-line block ×3, first 2 shown]
	v_add_f64 v[42:43], v[68:69], -v[52:53]
	v_add_f64 v[62:63], v[64:65], -v[60:61]
	;; [unrolled: 1-line block ×5, first 2 shown]
	v_add_f64 v[52:53], v[68:69], v[52:53]
	v_add_f64 v[40:41], v[48:49], v[40:41]
	v_add_f64 v[48:49], v[36:37], -v[48:49]
	v_add_f64 v[50:51], v[58:59], -v[50:51]
	;; [unrolled: 1-line block ×3, first 2 shown]
	v_add_f64 v[46:47], v[54:55], v[46:47]
	v_add_f64 v[54:55], v[54:55], -v[58:59]
	v_mul_f64 v[78:79], v[74:75], s[0:1]
	v_add_f64 v[38:39], v[60:61], v[38:39]
	v_add_f64 v[60:61], v[60:61], -v[66:67]
	v_mul_f64 v[42:43], v[42:43], s[14:15]
	v_mul_f64 v[62:63], v[62:63], s[6:7]
	;; [unrolled: 1-line block ×5, first 2 shown]
	v_add_f64 v[44:45], v[52:53], v[44:45]
	v_add_f64 v[36:37], v[40:41], v[36:37]
	;; [unrolled: 1-line block ×3, first 2 shown]
	v_mul_f64 v[58:59], v[54:55], s[4:5]
	v_add_f64 v[32:33], v[32:33], v[38:39]
	v_mul_f64 v[66:67], v[60:61], s[4:5]
	v_fma_f64 v[40:41], v[76:77], s[20:21], v[42:43]
	v_fma_f64 v[42:43], v[70:71], s[0:1], -v[42:43]
	v_fma_f64 v[52:53], v[54:55], s[4:5], v[56:57]
	v_fma_f64 v[54:55], v[60:61], s[4:5], v[62:63]
	v_fma_f64 v[60:61], v[76:77], s[22:23], -v[68:69]
	v_fma_f64 v[56:57], v[50:51], s[18:19], -v[56:57]
	;; [unrolled: 1-line block ×4, first 2 shown]
	v_fma_f64 v[46:47], v[46:47], s[12:13], v[34:35]
	v_fma_f64 v[50:51], v[50:51], s[16:17], -v[58:59]
	v_fma_f64 v[58:59], v[48:49], s[20:21], v[72:73]
	v_fma_f64 v[48:49], v[48:49], s[22:23], -v[78:79]
	;; [unrolled: 2-line block ×3, first 2 shown]
	v_fma_f64 v[40:41], v[44:45], s[24:25], v[40:41]
	v_fma_f64 v[60:61], v[44:45], s[24:25], v[60:61]
	;; [unrolled: 1-line block ×3, first 2 shown]
	v_add_f64 v[52:53], v[52:53], v[46:47]
	v_add_f64 v[56:57], v[56:57], v[46:47]
	v_fma_f64 v[66:67], v[36:37], s[24:25], v[58:59]
	v_fma_f64 v[70:71], v[36:37], s[24:25], v[48:49]
	;; [unrolled: 1-line block ×3, first 2 shown]
	v_add_f64 v[68:69], v[54:55], v[38:39]
	v_add_f64 v[62:63], v[62:63], v[38:39]
	v_add_f64 v[50:51], v[50:51], v[46:47]
	v_add_f64 v[64:65], v[64:65], v[38:39]
	v_add_f64 v[58:59], v[52:53], -v[40:41]
	v_add_f64 v[42:43], v[60:61], v[56:57]
	v_add_f64 v[54:55], v[56:57], -v[60:61]
	v_add_f64 v[38:39], v[40:41], v[52:53]
	v_add_f64 v[56:57], v[66:67], v[68:69]
	;; [unrolled: 1-line block ×3, first 2 shown]
	v_add_f64 v[46:47], v[50:51], -v[44:45]
	v_add_f64 v[50:51], v[44:45], v[50:51]
	v_add_f64 v[48:49], v[64:65], -v[36:37]
	v_add_f64 v[44:45], v[36:37], v[64:65]
	v_add_f64 v[40:41], v[62:63], -v[70:71]
	v_add_f64 v[36:37], v[68:69], -v[66:67]
	ds_write_b128 v188, v[32:35] offset:1792
	ds_write_b128 v188, v[56:59] offset:3840
	;; [unrolled: 1-line block ×7, first 2 shown]
.LBB0_9:
	s_or_b32 exec_lo, exec_lo, s26
	s_waitcnt lgkmcnt(0)
	s_barrier
	buffer_gl0_inv
	ds_read_b128 v[32:35], v188
	ds_read_b128 v[36:39], v188 offset:7168
	ds_read_b128 v[40:43], v188 offset:1792
	;; [unrolled: 1-line block ×7, first 2 shown]
	v_mad_u64_u32 v[64:65], null, s10, v176, 0
	v_mad_u64_u32 v[66:67], null, s8, v187, 0
	s_mov_b32 s0, 0x92492492
	s_mov_b32 s1, 0x3f524924
	s_mul_i32 s4, s9, 0x1c00
	s_mul_hi_u32 s5, s8, 0x1c00
	s_add_i32 s5, s5, s4
	v_mad_u64_u32 v[74:75], null, s11, v176, v[65:66]
	s_mul_hi_u32 s4, s8, 0xffffeb00
	s_sub_i32 s4, s4, s8
	s_waitcnt lgkmcnt(7)
	v_mul_f64 v[68:69], v[2:3], v[34:35]
	v_mul_f64 v[2:3], v[2:3], v[32:33]
	s_waitcnt lgkmcnt(6)
	v_mul_f64 v[70:71], v[26:27], v[38:39]
	v_mul_f64 v[26:27], v[26:27], v[36:37]
	;; [unrolled: 3-line block ×5, first 2 shown]
	v_mov_b32_e32 v65, v74
	v_mad_u64_u32 v[75:76], null, s9, v187, v[67:68]
	v_mul_f64 v[76:77], v[10:11], v[46:47]
	v_mul_f64 v[10:11], v[10:11], v[44:45]
	v_fma_f64 v[32:33], v[0:1], v[32:33], v[68:69]
	v_fma_f64 v[2:3], v[0:1], v[34:35], -v[2:3]
	v_fma_f64 v[34:35], v[24:25], v[36:37], v[70:71]
	v_fma_f64 v[24:25], v[24:25], v[38:39], -v[26:27]
	v_fma_f64 v[40:41], v[4:5], v[40:41], v[72:73]
	s_waitcnt lgkmcnt(1)
	v_mul_f64 v[26:27], v[22:23], v[58:59]
	v_mul_f64 v[22:23], v[22:23], v[56:57]
	s_waitcnt lgkmcnt(0)
	v_mul_f64 v[36:37], v[30:31], v[62:63]
	v_mul_f64 v[30:31], v[30:31], v[60:61]
	v_mov_b32_e32 v67, v75
	v_lshlrev_b64 v[0:1], 4, v[64:65]
	v_fma_f64 v[42:43], v[4:5], v[42:43], -v[6:7]
	v_lshlrev_b64 v[38:39], 4, v[66:67]
	v_add_co_u32 v0, vcc_lo, s2, v0
	v_add_co_ci_u32_e32 v1, vcc_lo, s3, v1, vcc_lo
	s_mul_i32 s2, s8, 0x1c00
	v_add_co_u32 v38, vcc_lo, v0, v38
	v_add_co_ci_u32_e32 v39, vcc_lo, v1, v39, vcc_lo
	v_mul_f64 v[0:1], v[32:33], s[0:1]
	v_fma_f64 v[32:33], v[8:9], v[46:47], -v[10:11]
	v_mul_f64 v[6:7], v[24:25], s[0:1]
	v_fma_f64 v[24:25], v[8:9], v[44:45], v[76:77]
	v_mul_f64 v[8:9], v[40:41], s[0:1]
	v_fma_f64 v[40:41], v[12:13], v[48:49], v[78:79]
	v_fma_f64 v[44:45], v[12:13], v[50:51], -v[14:15]
	v_fma_f64 v[46:47], v[16:17], v[52:53], v[80:81]
	v_fma_f64 v[48:49], v[16:17], v[54:55], -v[18:19]
	;; [unrolled: 2-line block ×4, first 2 shown]
	v_mul_f64 v[2:3], v[2:3], s[0:1]
	v_mul_f64 v[4:5], v[34:35], s[0:1]
	v_add_co_u32 v34, vcc_lo, v38, s2
	s_mul_i32 s3, s9, 0xffffeb00
	v_add_co_ci_u32_e32 v35, vcc_lo, s5, v39, vcc_lo
	s_add_i32 s4, s4, s3
	s_mul_i32 s3, s8, 0xffffeb00
	v_mul_f64 v[10:11], v[42:43], s[0:1]
	v_add_co_u32 v42, vcc_lo, v34, s3
	v_add_co_ci_u32_e32 v43, vcc_lo, s4, v35, vcc_lo
	v_mul_f64 v[14:15], v[32:33], s[0:1]
	v_add_co_u32 v32, vcc_lo, v42, s2
	v_mul_f64 v[12:13], v[24:25], s[0:1]
	v_add_co_ci_u32_e32 v33, vcc_lo, s5, v43, vcc_lo
	v_mul_f64 v[16:17], v[40:41], s[0:1]
	v_mul_f64 v[18:19], v[44:45], s[0:1]
	;; [unrolled: 1-line block ×8, first 2 shown]
	v_add_co_u32 v36, vcc_lo, v32, s3
	v_add_co_ci_u32_e32 v37, vcc_lo, s4, v33, vcc_lo
	global_store_dwordx4 v[38:39], v[0:3], off
	v_add_co_u32 v0, vcc_lo, v36, s2
	v_add_co_ci_u32_e32 v1, vcc_lo, s5, v37, vcc_lo
	global_store_dwordx4 v[34:35], v[4:7], off
	;; [unrolled: 3-line block ×4, first 2 shown]
	global_store_dwordx4 v[36:37], v[16:19], off
	global_store_dwordx4 v[0:1], v[20:23], off
	;; [unrolled: 1-line block ×4, first 2 shown]
.LBB0_10:
	s_endpgm
	.section	.rodata,"a",@progbits
	.p2align	6, 0x0
	.amdhsa_kernel bluestein_single_fwd_len896_dim1_dp_op_CI_CI
		.amdhsa_group_segment_fixed_size 14336
		.amdhsa_private_segment_fixed_size 0
		.amdhsa_kernarg_size 104
		.amdhsa_user_sgpr_count 6
		.amdhsa_user_sgpr_private_segment_buffer 1
		.amdhsa_user_sgpr_dispatch_ptr 0
		.amdhsa_user_sgpr_queue_ptr 0
		.amdhsa_user_sgpr_kernarg_segment_ptr 1
		.amdhsa_user_sgpr_dispatch_id 0
		.amdhsa_user_sgpr_flat_scratch_init 0
		.amdhsa_user_sgpr_private_segment_size 0
		.amdhsa_wavefront_size32 1
		.amdhsa_uses_dynamic_stack 0
		.amdhsa_system_sgpr_private_segment_wavefront_offset 0
		.amdhsa_system_sgpr_workgroup_id_x 1
		.amdhsa_system_sgpr_workgroup_id_y 0
		.amdhsa_system_sgpr_workgroup_id_z 0
		.amdhsa_system_sgpr_workgroup_info 0
		.amdhsa_system_vgpr_workitem_id 0
		.amdhsa_next_free_vgpr 231
		.amdhsa_next_free_sgpr 28
		.amdhsa_reserve_vcc 1
		.amdhsa_reserve_flat_scratch 0
		.amdhsa_float_round_mode_32 0
		.amdhsa_float_round_mode_16_64 0
		.amdhsa_float_denorm_mode_32 3
		.amdhsa_float_denorm_mode_16_64 3
		.amdhsa_dx10_clamp 1
		.amdhsa_ieee_mode 1
		.amdhsa_fp16_overflow 0
		.amdhsa_workgroup_processor_mode 1
		.amdhsa_memory_ordered 1
		.amdhsa_forward_progress 0
		.amdhsa_shared_vgpr_count 0
		.amdhsa_exception_fp_ieee_invalid_op 0
		.amdhsa_exception_fp_denorm_src 0
		.amdhsa_exception_fp_ieee_div_zero 0
		.amdhsa_exception_fp_ieee_overflow 0
		.amdhsa_exception_fp_ieee_underflow 0
		.amdhsa_exception_fp_ieee_inexact 0
		.amdhsa_exception_int_div_zero 0
	.end_amdhsa_kernel
	.text
.Lfunc_end0:
	.size	bluestein_single_fwd_len896_dim1_dp_op_CI_CI, .Lfunc_end0-bluestein_single_fwd_len896_dim1_dp_op_CI_CI
                                        ; -- End function
	.section	.AMDGPU.csdata,"",@progbits
; Kernel info:
; codeLenInByte = 13324
; NumSgprs: 30
; NumVgprs: 231
; ScratchSize: 0
; MemoryBound: 0
; FloatMode: 240
; IeeeMode: 1
; LDSByteSize: 14336 bytes/workgroup (compile time only)
; SGPRBlocks: 3
; VGPRBlocks: 28
; NumSGPRsForWavesPerEU: 30
; NumVGPRsForWavesPerEU: 231
; Occupancy: 4
; WaveLimiterHint : 1
; COMPUTE_PGM_RSRC2:SCRATCH_EN: 0
; COMPUTE_PGM_RSRC2:USER_SGPR: 6
; COMPUTE_PGM_RSRC2:TRAP_HANDLER: 0
; COMPUTE_PGM_RSRC2:TGID_X_EN: 1
; COMPUTE_PGM_RSRC2:TGID_Y_EN: 0
; COMPUTE_PGM_RSRC2:TGID_Z_EN: 0
; COMPUTE_PGM_RSRC2:TIDIG_COMP_CNT: 0
	.text
	.p2alignl 6, 3214868480
	.fill 48, 4, 3214868480
	.type	__hip_cuid_7d85e8dcc4469deb,@object ; @__hip_cuid_7d85e8dcc4469deb
	.section	.bss,"aw",@nobits
	.globl	__hip_cuid_7d85e8dcc4469deb
__hip_cuid_7d85e8dcc4469deb:
	.byte	0                               ; 0x0
	.size	__hip_cuid_7d85e8dcc4469deb, 1

	.ident	"AMD clang version 19.0.0git (https://github.com/RadeonOpenCompute/llvm-project roc-6.4.0 25133 c7fe45cf4b819c5991fe208aaa96edf142730f1d)"
	.section	".note.GNU-stack","",@progbits
	.addrsig
	.addrsig_sym __hip_cuid_7d85e8dcc4469deb
	.amdgpu_metadata
---
amdhsa.kernels:
  - .args:
      - .actual_access:  read_only
        .address_space:  global
        .offset:         0
        .size:           8
        .value_kind:     global_buffer
      - .actual_access:  read_only
        .address_space:  global
        .offset:         8
        .size:           8
        .value_kind:     global_buffer
      - .actual_access:  read_only
        .address_space:  global
        .offset:         16
        .size:           8
        .value_kind:     global_buffer
      - .actual_access:  read_only
        .address_space:  global
        .offset:         24
        .size:           8
        .value_kind:     global_buffer
      - .actual_access:  read_only
        .address_space:  global
        .offset:         32
        .size:           8
        .value_kind:     global_buffer
      - .offset:         40
        .size:           8
        .value_kind:     by_value
      - .address_space:  global
        .offset:         48
        .size:           8
        .value_kind:     global_buffer
      - .address_space:  global
        .offset:         56
        .size:           8
        .value_kind:     global_buffer
      - .address_space:  global
        .offset:         64
        .size:           8
        .value_kind:     global_buffer
      - .address_space:  global
        .offset:         72
        .size:           8
        .value_kind:     global_buffer
      - .offset:         80
        .size:           4
        .value_kind:     by_value
      - .address_space:  global
        .offset:         88
        .size:           8
        .value_kind:     global_buffer
      - .address_space:  global
        .offset:         96
        .size:           8
        .value_kind:     global_buffer
    .group_segment_fixed_size: 14336
    .kernarg_segment_align: 8
    .kernarg_segment_size: 104
    .language:       OpenCL C
    .language_version:
      - 2
      - 0
    .max_flat_workgroup_size: 112
    .name:           bluestein_single_fwd_len896_dim1_dp_op_CI_CI
    .private_segment_fixed_size: 0
    .sgpr_count:     30
    .sgpr_spill_count: 0
    .symbol:         bluestein_single_fwd_len896_dim1_dp_op_CI_CI.kd
    .uniform_work_group_size: 1
    .uses_dynamic_stack: false
    .vgpr_count:     231
    .vgpr_spill_count: 0
    .wavefront_size: 32
    .workgroup_processor_mode: 1
amdhsa.target:   amdgcn-amd-amdhsa--gfx1030
amdhsa.version:
  - 1
  - 2
...

	.end_amdgpu_metadata
